;; amdgpu-corpus repo=zjin-lcf/HeCBench kind=compiled arch=gfx1250 opt=O3
	.amdgcn_target "amdgcn-amd-amdhsa--gfx1250"
	.amdhsa_code_object_version 6
	.text
	.protected	_Z9boxmullerPfi         ; -- Begin function _Z9boxmullerPfi
	.globl	_Z9boxmullerPfi
	.p2align	8
	.type	_Z9boxmullerPfi,@function
_Z9boxmullerPfi:                        ; @_Z9boxmullerPfi
; %bb.0:
	s_load_b32 s3, s[0:1], 0x8
	s_wait_kmcnt 0x0
	s_cmp_lt_i32 s3, 1
	s_cbranch_scc1 .LBB0_11
; %bb.1:
	s_clause 0x1
	s_load_b32 s2, s[0:1], 0x1c
	s_load_b64 s[4:5], s[0:1], 0x0
	s_wait_xcnt 0x0
	s_bfe_u32 s0, ttmp6, 0x4000c
	s_and_b32 s1, ttmp6, 15
	s_add_co_i32 s0, s0, 1
	s_getreg_b32 s6, hwreg(HW_REG_IB_STS2, 6, 4)
	s_mul_i32 s0, ttmp9, s0
	v_mov_b32_e32 v3, 0
	s_add_co_i32 s1, s1, s0
	s_mov_b32 s8, 0
	s_mov_b32 s9, 0x7fffff
	;; [unrolled: 1-line block ×4, first 2 shown]
	s_wait_kmcnt 0x0
	s_and_b32 s2, s2, 0xffff
	s_cmp_eq_u32 s6, 0
	s_mov_b64 s[6:7], 0xfe5163ab
	s_cselect_b32 s0, ttmp9, s1
	s_delay_alu instid0(SALU_CYCLE_1)
	v_mad_u32 v0, s0, s2, v0
	s_branch .LBB0_3
.LBB0_2:                                ;   in Loop: Header=BB0_3 Depth=1
	s_or_b32 exec_lo, exec_lo, s0
	s_delay_alu instid0(VALU_DEP_1) | instskip(SKIP_2) | instid1(VALU_DEP_2)
	v_dual_mul_f32 v8, v1, v1 :: v_dual_bitop2_b32 v11, 1, v2 bitop3:0x40
	v_xor_b32_e32 v5, v6, v5
	s_add_co_i32 s8, s8, 2
	v_dual_fmaak_f32 v9, s10, v8, 0x3c0881c4 :: v_dual_lshlrev_b32 v2, 30, v2
	s_delay_alu instid0(VALU_DEP_3) | instskip(SKIP_4) | instid1(VALU_DEP_1)
	v_cmp_eq_u32_e64 s0, 0, v11
	s_cmp_ge_i32 s8, s3
	v_add_nc_u32_e32 v0, 0x2000, v0
	v_and_b32_e32 v2, 0x80000000, v2
	v_fmaak_f32 v9, v8, v9, 0xbe2aaa9d
	v_dual_fmaak_f32 v10, s11, v8, 0xbab64f3b :: v_dual_mul_f32 v9, v8, v9
	s_delay_alu instid0(VALU_DEP_1) | instskip(NEXT) | instid1(VALU_DEP_1)
	v_dual_fmaak_f32 v10, v8, v10, 0x3d2aabf7 :: v_dual_fmac_f32 v1, v1, v9
	v_fmaak_f32 v10, v8, v10, 0xbf000004
	s_delay_alu instid0(VALU_DEP_1) | instskip(NEXT) | instid1(VALU_DEP_1)
	v_fma_f32 v8, v8, v10, 1.0
	v_cndmask_b32_e64 v1, v8, v1, s0
	s_delay_alu instid0(VALU_DEP_1) | instskip(SKIP_1) | instid1(VALU_DEP_2)
	v_xor3_b32 v1, v5, v2, v1
	v_ashrrev_i32_e32 v5, 31, v4
	v_cndmask_b32_e32 v1, 0x7fc00000, v1, vcc_lo
	s_delay_alu instid0(VALU_DEP_2) | instskip(NEXT) | instid1(VALU_DEP_2)
	v_lshl_add_u64 v[4:5], v[4:5], 2, s[4:5]
	v_mul_f32_e32 v1, v7, v1
	global_store_b32 v[4:5], v1, off
	s_cbranch_scc1 .LBB0_11
.LBB0_3:                                ; =>This Inner Loop Header: Depth=1
	s_wait_xcnt 0x0
	s_delay_alu instid0(VALU_DEP_1)
	v_add_nc_u32_e32 v4, 0x1000, v0
                                        ; implicit-def: $vgpr7
	s_clause 0x1
	global_load_b32 v2, v4, s[4:5] scale_offset
	global_load_b32 v1, v0, s[4:5] scale_offset
	s_wait_loadcnt 0x1
	v_mul_f32_e32 v5, 0x40c90fdb, v2
                                        ; implicit-def: $vgpr2
	s_delay_alu instid0(VALU_DEP_1) | instskip(SKIP_3) | instid1(SALU_CYCLE_1)
	v_and_b32_e32 v6, 0x7fffffff, v5
	v_cmp_ngt_f32_e64 s2, 0x48000000, |v5|
	s_wait_xcnt 0x0
	s_and_saveexec_b32 s0, s2
	s_xor_b32 s12, exec_lo, s0
	s_cbranch_execz .LBB0_5
; %bb.4:                                ;   in Loop: Header=BB0_3 Depth=1
	v_and_or_b32 v2, v6, s9, 0x800000
	v_dual_lshrrev_b32 v7, 23, v6 :: v_dual_mov_b32 v19, v3
	v_mov_b32_e32 v21, v3
	s_delay_alu instid0(VALU_DEP_3) | instskip(SKIP_1) | instid1(VALU_DEP_4)
	v_mul_u64_e32 v[8:9], s[6:7], v[2:3]
	v_mov_b32_e32 v11, v3
	v_add_nc_u32_e32 v7, 0xffffff88, v7
	s_delay_alu instid0(VALU_DEP_1) | instskip(NEXT) | instid1(VALU_DEP_4)
	v_cmp_lt_u32_e32 vcc_lo, 63, v7
	v_mov_b32_e32 v10, v9
	v_cndmask_b32_e64 v9, 0, 0xffffffc0, vcc_lo
	s_delay_alu instid0(VALU_DEP_2) | instskip(NEXT) | instid1(VALU_DEP_2)
	v_mad_nc_u64_u32 v[10:11], 0x3c439041, v2, v[10:11]
	v_dual_mov_b32 v13, v3 :: v_dual_add_nc_u32 v7, v9, v7
	s_delay_alu instid0(VALU_DEP_1) | instskip(NEXT) | instid1(VALU_DEP_3)
	v_cmp_lt_u32_e64 s0, 31, v7
	v_mov_b32_e32 v12, v11
	s_delay_alu instid0(VALU_DEP_2) | instskip(NEXT) | instid1(VALU_DEP_2)
	v_cndmask_b32_e64 v9, 0, 0xffffffe0, s0
	v_mad_nc_u64_u32 v[12:13], 0xdb629599, v2, v[12:13]
	s_delay_alu instid0(VALU_DEP_1) | instskip(NEXT) | instid1(VALU_DEP_2)
	v_dual_mov_b32 v15, v3 :: v_dual_mov_b32 v14, v13
	v_cndmask_b32_e32 v8, v12, v8, vcc_lo
	s_delay_alu instid0(VALU_DEP_2) | instskip(NEXT) | instid1(VALU_DEP_1)
	v_mad_nc_u64_u32 v[14:15], 0xf534ddc0, v2, v[14:15]
	v_dual_mov_b32 v17, v3 :: v_dual_mov_b32 v16, v15
	s_delay_alu instid0(VALU_DEP_1) | instskip(NEXT) | instid1(VALU_DEP_1)
	v_mad_nc_u64_u32 v[16:17], 0xfc2757d1, v2, v[16:17]
	v_dual_mov_b32 v18, v17 :: v_dual_cndmask_b32 v15, v16, v12
	s_delay_alu instid0(VALU_DEP_1) | instskip(NEXT) | instid1(VALU_DEP_1)
	v_mad_nc_u64_u32 v[18:19], 0x4e441529, v2, v[18:19]
	v_mov_b32_e32 v20, v19
	s_delay_alu instid0(VALU_DEP_1) | instskip(NEXT) | instid1(VALU_DEP_3)
	v_mad_nc_u64_u32 v[20:21], 0xa2f9836e, v2, v[20:21]
	v_dual_cndmask_b32 v9, v18, v14 :: v_dual_add_nc_u32 v2, v9, v7
	s_delay_alu instid0(VALU_DEP_1) | instskip(NEXT) | instid1(VALU_DEP_1)
	v_cmp_lt_u32_e64 s1, 31, v2
	v_cndmask_b32_e64 v7, 0, 0xffffffe0, s1
	s_delay_alu instid0(VALU_DEP_4) | instskip(NEXT) | instid1(VALU_DEP_2)
	v_dual_cndmask_b32 v11, v20, v16, vcc_lo :: v_dual_cndmask_b32 v13, v21, v18, vcc_lo
	v_add_nc_u32_e32 v2, v7, v2
	s_delay_alu instid0(VALU_DEP_2) | instskip(NEXT) | instid1(VALU_DEP_3)
	v_dual_cndmask_b32 v7, v14, v10, vcc_lo :: v_dual_cndmask_b32 v10, v11, v9, s0
	v_cndmask_b32_e64 v11, v13, v11, s0
	s_delay_alu instid0(VALU_DEP_3) | instskip(NEXT) | instid1(VALU_DEP_3)
	v_dual_cndmask_b32 v9, v9, v15, s0 :: v_dual_sub_nc_u32 v13, 32, v2
	v_cndmask_b32_e64 v14, v15, v7, s0
	v_cmp_eq_u32_e32 vcc_lo, 0, v2
	s_delay_alu instid0(VALU_DEP_3) | instskip(NEXT) | instid1(VALU_DEP_1)
	v_dual_cndmask_b32 v11, v11, v10, s1 :: v_dual_cndmask_b32 v10, v10, v9, s1
	v_alignbit_b32 v15, v11, v10, v13
	s_delay_alu instid0(VALU_DEP_1) | instskip(NEXT) | instid1(VALU_DEP_1)
	v_dual_cndmask_b32 v9, v9, v14, s1 :: v_dual_cndmask_b32 v2, v15, v11, vcc_lo
	v_alignbit_b32 v12, v10, v9, v13
	s_delay_alu instid0(VALU_DEP_1) | instskip(NEXT) | instid1(VALU_DEP_3)
	v_dual_cndmask_b32 v7, v7, v8, s0 :: v_dual_cndmask_b32 v8, v12, v10, vcc_lo
	v_bfe_u32 v10, v2, 29, 1
	s_delay_alu instid0(VALU_DEP_2) | instskip(NEXT) | instid1(VALU_DEP_3)
	v_cndmask_b32_e64 v7, v14, v7, s1
	v_alignbit_b32 v11, v2, v8, 30
	s_delay_alu instid0(VALU_DEP_3) | instskip(NEXT) | instid1(VALU_DEP_3)
	v_sub_nc_u32_e32 v12, 0, v10
	v_alignbit_b32 v13, v9, v7, v13
	s_delay_alu instid0(VALU_DEP_1) | instskip(NEXT) | instid1(VALU_DEP_1)
	v_dual_cndmask_b32 v9, v13, v9, vcc_lo :: v_dual_bitop2_b32 v11, v11, v12 bitop3:0x14
	v_clz_i32_u32_e32 v13, v11
	s_delay_alu instid0(VALU_DEP_2) | instskip(SKIP_1) | instid1(VALU_DEP_3)
	v_alignbit_b32 v8, v8, v9, 30
	v_alignbit_b32 v7, v9, v7, 30
	v_min_u32_e32 v13, 32, v13
	s_delay_alu instid0(VALU_DEP_3) | instskip(NEXT) | instid1(VALU_DEP_3)
	v_xor_b32_e32 v8, v8, v12
	v_dual_lshrrev_b32 v12, 29, v2 :: v_dual_bitop2_b32 v7, v7, v12 bitop3:0x14
	s_delay_alu instid0(VALU_DEP_3) | instskip(NEXT) | instid1(VALU_DEP_1)
	v_dual_sub_nc_u32 v9, 31, v13 :: v_dual_lshlrev_b32 v14, 23, v13
	v_alignbit_b32 v11, v11, v8, v9
	s_delay_alu instid0(VALU_DEP_3) | instskip(NEXT) | instid1(VALU_DEP_4)
	v_alignbit_b32 v7, v8, v7, v9
	v_lshlrev_b32_e32 v8, 31, v12
	s_delay_alu instid0(VALU_DEP_2) | instskip(NEXT) | instid1(VALU_DEP_2)
	v_alignbit_b32 v9, v11, v7, 9
	v_dual_lshrrev_b32 v11, 9, v11 :: v_dual_bitop2_b32 v12, 0.5, v8 bitop3:0x54
	v_or_b32_e32 v8, 0x33000000, v8
	s_delay_alu instid0(VALU_DEP_3) | instskip(NEXT) | instid1(VALU_DEP_3)
	v_clz_i32_u32_e32 v15, v9
	v_sub_nc_u32_e32 v12, v12, v14
	s_delay_alu instid0(VALU_DEP_2) | instskip(NEXT) | instid1(VALU_DEP_1)
	v_min_u32_e32 v14, 32, v15
	v_add_lshl_u32 v13, v14, v13, 23
	s_delay_alu instid0(VALU_DEP_3) | instskip(SKIP_1) | instid1(VALU_DEP_2)
	v_or_b32_e32 v11, v11, v12
	v_not_b32_e32 v12, v14
	v_dual_mul_f32 v15, 0x3fc90fda, v11 :: v_dual_sub_nc_u32 v8, v8, v13
	s_delay_alu instid0(VALU_DEP_2) | instskip(NEXT) | instid1(VALU_DEP_2)
	v_alignbit_b32 v7, v9, v7, v12
	v_fma_f32 v9, 0x3fc90fda, v11, -v15
	s_delay_alu instid0(VALU_DEP_2) | instskip(NEXT) | instid1(VALU_DEP_2)
	v_lshrrev_b32_e32 v7, 9, v7
	v_fmac_f32_e32 v9, 0x33a22168, v11
	s_delay_alu instid0(VALU_DEP_2) | instskip(NEXT) | instid1(VALU_DEP_1)
	v_or_b32_e32 v7, v8, v7
	v_fmac_f32_e32 v9, 0x3fc90fda, v7
	s_delay_alu instid0(VALU_DEP_1) | instskip(NEXT) | instid1(VALU_DEP_1)
	v_dual_add_f32 v2, v15, v9 :: v_dual_lshrrev_b32 v7, 30, v2
	v_add_nc_u32_e32 v7, v10, v7
.LBB0_5:                                ;   in Loop: Header=BB0_3 Depth=1
	s_and_not1_saveexec_b32 s0, s12
; %bb.6:                                ;   in Loop: Header=BB0_3 Depth=1
	v_mul_f32_e64 v2, 0x3f22f983, |v5|
	s_delay_alu instid0(VALU_DEP_1) | instskip(NEXT) | instid1(VALU_DEP_1)
	v_rndne_f32_e32 v7, v2
	v_fma_f32 v2, 0xbfc90fda, v7, |v5|
	s_delay_alu instid0(VALU_DEP_1) | instskip(NEXT) | instid1(VALU_DEP_1)
	v_fmac_f32_e32 v2, 0xb3a22168, v7
	v_fmac_f32_e32 v2, 0xa7c234c4, v7
	v_cvt_i32_f32_e32 v7, v7
; %bb.7:                                ;   in Loop: Header=BB0_3 Depth=1
	s_or_b32 exec_lo, exec_lo, s0
	s_wait_loadcnt 0x0
	v_cmp_gt_f32_e32 vcc_lo, 0x800000, v1
	v_cndmask_b32_e64 v8, 0, 32, vcc_lo
	v_cndmask_b32_e64 v9, 0, 0x41b17218, vcc_lo
	s_delay_alu instid0(VALU_DEP_2) | instskip(NEXT) | instid1(VALU_DEP_1)
	v_ldexp_f32 v1, v1, v8
	v_log_f32_e32 v1, v1
	v_nop
	s_delay_alu instid0(TRANS32_DEP_1) | instskip(SKIP_1) | instid1(VALU_DEP_2)
	v_mul_f32_e32 v8, 0x3f317217, v1
	v_cmp_gt_f32_e64 vcc_lo, 0x7f800000, |v1|
	v_fma_f32 v8, 0x3f317217, v1, -v8
	s_delay_alu instid0(VALU_DEP_1) | instskip(NEXT) | instid1(VALU_DEP_1)
	v_fmac_f32_e32 v8, 0x3377d1cf, v1
	v_fmac_f32_e32 v8, 0x3f317217, v1
	s_delay_alu instid0(VALU_DEP_1) | instskip(NEXT) | instid1(VALU_DEP_1)
	v_cndmask_b32_e32 v1, v1, v8, vcc_lo
	v_dual_sub_f32 v1, v1, v9 :: v_dual_mul_f32 v9, v2, v2
	s_delay_alu instid0(VALU_DEP_1) | instskip(NEXT) | instid1(VALU_DEP_2)
	v_fmaak_f32 v12, s11, v9, 0xbab64f3b
	v_mul_f32_e32 v1, -2.0, v1
	v_fmaak_f32 v11, s10, v9, 0x3c0881c4
	s_delay_alu instid0(VALU_DEP_3) | instskip(NEXT) | instid1(VALU_DEP_3)
	v_fmaak_f32 v12, v9, v12, 0x3d2aabf7
	v_mul_f32_e32 v8, 0x4f800000, v1
	v_cmp_gt_f32_e32 vcc_lo, 0xf800000, v1
	s_delay_alu instid0(VALU_DEP_4) | instskip(NEXT) | instid1(VALU_DEP_3)
	v_fmaak_f32 v11, v9, v11, 0xbe2aaa9d
	v_cndmask_b32_e32 v8, v1, v8, vcc_lo
	s_delay_alu instid0(VALU_DEP_1) | instskip(SKIP_1) | instid1(TRANS32_DEP_1)
	v_sqrt_f32_e32 v1, v8
	v_nop
	v_dual_add_nc_u32 v10, -1, v1 :: v_dual_add_nc_u32 v13, 1, v1
	s_delay_alu instid0(VALU_DEP_1) | instskip(NEXT) | instid1(VALU_DEP_1)
	v_dual_fma_f32 v14, -v10, v1, v8 :: v_dual_fma_f32 v15, -v13, v1, v8
	v_cmp_ge_f32_e64 s0, 0, v14
	s_delay_alu instid0(VALU_DEP_1) | instskip(NEXT) | instid1(VALU_DEP_3)
	v_cndmask_b32_e64 v1, v1, v10, s0
	v_cmp_lt_f32_e64 s0, 0, v15
	v_dual_mul_f32 v10, v9, v11 :: v_dual_fmaak_f32 v11, v9, v12, 0xbf000004
	v_dual_lshlrev_b32 v7, 30, v7 :: v_dual_bitop2_b32 v12, 1, v7 bitop3:0x40
	s_delay_alu instid0(VALU_DEP_2) | instskip(NEXT) | instid1(VALU_DEP_3)
	v_dual_cndmask_b32 v1, v1, v13, s0 :: v_dual_fmac_f32 v2, v2, v10
	v_fma_f32 v9, v9, v11, 1.0
	s_delay_alu instid0(VALU_DEP_3) | instskip(NEXT) | instid1(VALU_DEP_3)
	v_cmp_eq_u32_e64 s0, 0, v12
	v_mul_f32_e32 v10, 0x37800000, v1
	s_delay_alu instid0(VALU_DEP_1) | instskip(SKIP_2) | instid1(VALU_DEP_3)
	v_dual_cndmask_b32 v2, -v2, v9, s0 :: v_dual_cndmask_b32 v9, v1, v10, vcc_lo
	v_cmp_class_f32_e64 vcc_lo, v8, 0x260
	v_ashrrev_i32_e32 v1, 31, v0
	v_bitop3_b32 v2, v7, v2, 0x80000000 bitop3:0x6c
	s_delay_alu instid0(VALU_DEP_4) | instskip(SKIP_1) | instid1(VALU_DEP_4)
	v_cndmask_b32_e32 v7, v9, v8, vcc_lo
	v_cmp_class_f32_e64 vcc_lo, v5, 0x1f8
	v_lshl_add_u64 v[8:9], v[0:1], 2, s[4:5]
	s_delay_alu instid0(VALU_DEP_4) | instskip(NEXT) | instid1(VALU_DEP_1)
	v_cndmask_b32_e32 v2, 0x7fc00000, v2, vcc_lo
	v_mul_f32_e32 v1, v7, v2
                                        ; implicit-def: $vgpr2
	global_store_b32 v[8:9], v1, off
                                        ; implicit-def: $vgpr1
	s_wait_xcnt 0x0
	s_and_saveexec_b32 s0, s2
	s_delay_alu instid0(SALU_CYCLE_1)
	s_xor_b32 s12, exec_lo, s0
	s_cbranch_execz .LBB0_9
; %bb.8:                                ;   in Loop: Header=BB0_3 Depth=1
	v_and_or_b32 v2, v6, s9, 0x800000
	v_dual_lshrrev_b32 v1, 23, v6 :: v_dual_mov_b32 v19, v3
	v_mov_b32_e32 v21, v3
	s_delay_alu instid0(VALU_DEP_3) | instskip(SKIP_1) | instid1(VALU_DEP_4)
	v_mul_u64_e32 v[8:9], s[6:7], v[2:3]
	v_mov_b32_e32 v11, v3
	v_add_nc_u32_e32 v1, 0xffffff88, v1
	s_delay_alu instid0(VALU_DEP_1) | instskip(NEXT) | instid1(VALU_DEP_4)
	v_cmp_lt_u32_e64 s0, 63, v1
	v_mov_b32_e32 v10, v9
	s_delay_alu instid0(VALU_DEP_2) | instskip(NEXT) | instid1(VALU_DEP_2)
	v_cndmask_b32_e64 v9, 0, 0xffffffc0, s0
	v_mad_nc_u64_u32 v[10:11], 0x3c439041, v2, v[10:11]
	s_delay_alu instid0(VALU_DEP_2) | instskip(NEXT) | instid1(VALU_DEP_1)
	v_dual_mov_b32 v13, v3 :: v_dual_add_nc_u32 v1, v9, v1
	v_cmp_lt_u32_e64 s1, 31, v1
	s_delay_alu instid0(VALU_DEP_3) | instskip(NEXT) | instid1(VALU_DEP_2)
	v_mov_b32_e32 v12, v11
	v_cndmask_b32_e64 v9, 0, 0xffffffe0, s1
	s_delay_alu instid0(VALU_DEP_2) | instskip(NEXT) | instid1(VALU_DEP_2)
	v_mad_nc_u64_u32 v[12:13], 0xdb629599, v2, v[12:13]
	v_dual_mov_b32 v15, v3 :: v_dual_add_nc_u32 v1, v9, v1
	s_delay_alu instid0(VALU_DEP_1) | instskip(NEXT) | instid1(VALU_DEP_3)
	v_cmp_lt_u32_e64 s2, 31, v1
	v_dual_mov_b32 v14, v13 :: v_dual_cndmask_b32 v8, v12, v8, s0
	s_delay_alu instid0(VALU_DEP_1) | instskip(NEXT) | instid1(VALU_DEP_1)
	v_mad_nc_u64_u32 v[14:15], 0xf534ddc0, v2, v[14:15]
	v_dual_mov_b32 v17, v3 :: v_dual_mov_b32 v16, v15
	s_delay_alu instid0(VALU_DEP_1) | instskip(NEXT) | instid1(VALU_DEP_1)
	v_mad_nc_u64_u32 v[16:17], 0xfc2757d1, v2, v[16:17]
	v_dual_mov_b32 v18, v17 :: v_dual_cndmask_b32 v15, v16, v12, s0
	s_delay_alu instid0(VALU_DEP_1) | instskip(NEXT) | instid1(VALU_DEP_1)
	v_mad_nc_u64_u32 v[18:19], 0x4e441529, v2, v[18:19]
	v_mov_b32_e32 v20, v19
	s_delay_alu instid0(VALU_DEP_1) | instskip(SKIP_1) | instid1(VALU_DEP_2)
	v_mad_nc_u64_u32 v[20:21], 0xa2f9836e, v2, v[20:21]
	v_cndmask_b32_e64 v2, 0, 0xffffffe0, s2
	v_dual_cndmask_b32 v9, v18, v14, s0 :: v_dual_cndmask_b32 v11, v20, v16, s0
	s_delay_alu instid0(VALU_DEP_2) | instskip(NEXT) | instid1(VALU_DEP_2)
	v_dual_cndmask_b32 v13, v21, v18, s0 :: v_dual_add_nc_u32 v1, v2, v1
	v_dual_cndmask_b32 v2, v14, v10, s0 :: v_dual_cndmask_b32 v10, v11, v9, s1
	s_delay_alu instid0(VALU_DEP_2) | instskip(NEXT) | instid1(VALU_DEP_3)
	v_cndmask_b32_e64 v11, v13, v11, s1
	v_dual_cndmask_b32 v9, v9, v15, s1 :: v_dual_sub_nc_u32 v13, 32, v1
	s_delay_alu instid0(VALU_DEP_3) | instskip(SKIP_1) | instid1(VALU_DEP_3)
	v_cndmask_b32_e64 v14, v15, v2, s1
	v_cmp_eq_u32_e64 s0, 0, v1
	v_dual_cndmask_b32 v11, v11, v10, s2 :: v_dual_cndmask_b32 v10, v10, v9, s2
	s_delay_alu instid0(VALU_DEP_1) | instskip(NEXT) | instid1(VALU_DEP_1)
	v_alignbit_b32 v15, v11, v10, v13
	v_dual_cndmask_b32 v9, v9, v14, s2 :: v_dual_cndmask_b32 v1, v15, v11, s0
	s_delay_alu instid0(VALU_DEP_1) | instskip(NEXT) | instid1(VALU_DEP_1)
	v_alignbit_b32 v12, v10, v9, v13
	v_dual_cndmask_b32 v2, v2, v8, s1 :: v_dual_cndmask_b32 v8, v12, v10, s0
	s_delay_alu instid0(VALU_DEP_3) | instskip(NEXT) | instid1(VALU_DEP_2)
	v_bfe_u32 v10, v1, 29, 1
	v_alignbit_b32 v11, v1, v8, 30
	s_delay_alu instid0(VALU_DEP_2) | instskip(NEXT) | instid1(VALU_DEP_1)
	v_sub_nc_u32_e32 v12, 0, v10
	v_dual_cndmask_b32 v2, v14, v2, s2 :: v_dual_bitop2_b32 v11, v11, v12 bitop3:0x14
	s_delay_alu instid0(VALU_DEP_1) | instskip(NEXT) | instid1(VALU_DEP_1)
	v_alignbit_b32 v13, v9, v2, v13
	v_cndmask_b32_e64 v9, v13, v9, s0
	s_delay_alu instid0(VALU_DEP_3) | instskip(NEXT) | instid1(VALU_DEP_2)
	v_clz_i32_u32_e32 v13, v11
	v_alignbit_b32 v8, v8, v9, 30
	s_delay_alu instid0(VALU_DEP_2) | instskip(SKIP_1) | instid1(VALU_DEP_2)
	v_min_u32_e32 v13, 32, v13
	v_alignbit_b32 v2, v9, v2, 30
	v_dual_sub_nc_u32 v9, 31, v13 :: v_dual_bitop2_b32 v8, v8, v12 bitop3:0x14
	s_delay_alu instid0(VALU_DEP_2) | instskip(SKIP_1) | instid1(VALU_DEP_3)
	v_dual_lshrrev_b32 v12, 29, v1 :: v_dual_bitop2_b32 v2, v2, v12 bitop3:0x14
	v_lshlrev_b32_e32 v14, 23, v13
	v_alignbit_b32 v11, v11, v8, v9
	s_delay_alu instid0(VALU_DEP_3) | instskip(NEXT) | instid1(VALU_DEP_4)
	v_alignbit_b32 v2, v8, v2, v9
	v_lshlrev_b32_e32 v8, 31, v12
	s_delay_alu instid0(VALU_DEP_2) | instskip(NEXT) | instid1(VALU_DEP_2)
	v_alignbit_b32 v9, v11, v2, 9
	v_dual_lshrrev_b32 v11, 9, v11 :: v_dual_bitop2_b32 v12, 0.5, v8 bitop3:0x54
	v_or_b32_e32 v8, 0x33000000, v8
	s_delay_alu instid0(VALU_DEP_3) | instskip(NEXT) | instid1(VALU_DEP_3)
	v_clz_i32_u32_e32 v15, v9
	v_sub_nc_u32_e32 v12, v12, v14
	s_delay_alu instid0(VALU_DEP_2) | instskip(NEXT) | instid1(VALU_DEP_1)
	v_min_u32_e32 v14, 32, v15
	v_add_lshl_u32 v13, v14, v13, 23
	s_delay_alu instid0(VALU_DEP_3) | instskip(SKIP_1) | instid1(VALU_DEP_2)
	v_or_b32_e32 v11, v11, v12
	v_not_b32_e32 v12, v14
	v_dual_mul_f32 v15, 0x3fc90fda, v11 :: v_dual_sub_nc_u32 v8, v8, v13
	s_delay_alu instid0(VALU_DEP_2) | instskip(NEXT) | instid1(VALU_DEP_2)
	v_alignbit_b32 v2, v9, v2, v12
	v_fma_f32 v9, 0x3fc90fda, v11, -v15
	s_delay_alu instid0(VALU_DEP_1) | instskip(NEXT) | instid1(VALU_DEP_1)
	v_dual_fmac_f32 v9, 0x33a22168, v11 :: v_dual_lshrrev_b32 v2, 9, v2
	v_or_b32_e32 v2, v8, v2
	s_delay_alu instid0(VALU_DEP_1) | instskip(NEXT) | instid1(VALU_DEP_1)
	v_dual_fmac_f32 v9, 0x3fc90fda, v2 :: v_dual_lshrrev_b32 v2, 30, v1
	v_dual_add_f32 v1, v15, v9 :: v_dual_add_nc_u32 v2, v10, v2
.LBB0_9:                                ;   in Loop: Header=BB0_3 Depth=1
	s_and_not1_saveexec_b32 s0, s12
	s_cbranch_execz .LBB0_2
; %bb.10:                               ;   in Loop: Header=BB0_3 Depth=1
	v_mul_f32_e64 v1, 0x3f22f983, |v5|
	s_delay_alu instid0(VALU_DEP_1) | instskip(NEXT) | instid1(VALU_DEP_1)
	v_rndne_f32_e32 v2, v1
	v_fma_f32 v1, 0xbfc90fda, v2, |v5|
	s_delay_alu instid0(VALU_DEP_1) | instskip(NEXT) | instid1(VALU_DEP_1)
	v_fmac_f32_e32 v1, 0xb3a22168, v2
	v_fmac_f32_e32 v1, 0xa7c234c4, v2
	v_cvt_i32_f32_e32 v2, v2
	s_branch .LBB0_2
.LBB0_11:
	s_endpgm
	.section	.rodata,"a",@progbits
	.p2align	6, 0x0
	.amdhsa_kernel _Z9boxmullerPfi
		.amdhsa_group_segment_fixed_size 0
		.amdhsa_private_segment_fixed_size 0
		.amdhsa_kernarg_size 272
		.amdhsa_user_sgpr_count 2
		.amdhsa_user_sgpr_dispatch_ptr 0
		.amdhsa_user_sgpr_queue_ptr 0
		.amdhsa_user_sgpr_kernarg_segment_ptr 1
		.amdhsa_user_sgpr_dispatch_id 0
		.amdhsa_user_sgpr_kernarg_preload_length 0
		.amdhsa_user_sgpr_kernarg_preload_offset 0
		.amdhsa_user_sgpr_private_segment_size 0
		.amdhsa_wavefront_size32 1
		.amdhsa_uses_dynamic_stack 0
		.amdhsa_enable_private_segment 0
		.amdhsa_system_sgpr_workgroup_id_x 1
		.amdhsa_system_sgpr_workgroup_id_y 0
		.amdhsa_system_sgpr_workgroup_id_z 0
		.amdhsa_system_sgpr_workgroup_info 0
		.amdhsa_system_vgpr_workitem_id 0
		.amdhsa_next_free_vgpr 22
		.amdhsa_next_free_sgpr 13
		.amdhsa_named_barrier_count 0
		.amdhsa_reserve_vcc 1
		.amdhsa_float_round_mode_32 0
		.amdhsa_float_round_mode_16_64 0
		.amdhsa_float_denorm_mode_32 3
		.amdhsa_float_denorm_mode_16_64 3
		.amdhsa_fp16_overflow 0
		.amdhsa_memory_ordered 1
		.amdhsa_forward_progress 1
		.amdhsa_inst_pref_size 20
		.amdhsa_round_robin_scheduling 0
		.amdhsa_exception_fp_ieee_invalid_op 0
		.amdhsa_exception_fp_denorm_src 0
		.amdhsa_exception_fp_ieee_div_zero 0
		.amdhsa_exception_fp_ieee_overflow 0
		.amdhsa_exception_fp_ieee_underflow 0
		.amdhsa_exception_fp_ieee_inexact 0
		.amdhsa_exception_int_div_zero 0
	.end_amdhsa_kernel
	.text
.Lfunc_end0:
	.size	_Z9boxmullerPfi, .Lfunc_end0-_Z9boxmullerPfi
                                        ; -- End function
	.set _Z9boxmullerPfi.num_vgpr, 22
	.set _Z9boxmullerPfi.num_agpr, 0
	.set _Z9boxmullerPfi.numbered_sgpr, 13
	.set _Z9boxmullerPfi.num_named_barrier, 0
	.set _Z9boxmullerPfi.private_seg_size, 0
	.set _Z9boxmullerPfi.uses_vcc, 1
	.set _Z9boxmullerPfi.uses_flat_scratch, 0
	.set _Z9boxmullerPfi.has_dyn_sized_stack, 0
	.set _Z9boxmullerPfi.has_recursion, 0
	.set _Z9boxmullerPfi.has_indirect_call, 0
	.section	.AMDGPU.csdata,"",@progbits
; Kernel info:
; codeLenInByte = 2472
; TotalNumSgprs: 15
; NumVgprs: 22
; ScratchSize: 0
; MemoryBound: 0
; FloatMode: 240
; IeeeMode: 1
; LDSByteSize: 0 bytes/workgroup (compile time only)
; SGPRBlocks: 0
; VGPRBlocks: 1
; NumSGPRsForWavesPerEU: 15
; NumVGPRsForWavesPerEU: 22
; NamedBarCnt: 0
; Occupancy: 16
; WaveLimiterHint : 0
; COMPUTE_PGM_RSRC2:SCRATCH_EN: 0
; COMPUTE_PGM_RSRC2:USER_SGPR: 2
; COMPUTE_PGM_RSRC2:TRAP_HANDLER: 0
; COMPUTE_PGM_RSRC2:TGID_X_EN: 1
; COMPUTE_PGM_RSRC2:TGID_Y_EN: 0
; COMPUTE_PGM_RSRC2:TGID_Z_EN: 0
; COMPUTE_PGM_RSRC2:TIDIG_COMP_CNT: 0
	.text
	.protected	_Z2mtPK18mt_struct_strippedPfi ; -- Begin function _Z2mtPK18mt_struct_strippedPfi
	.globl	_Z2mtPK18mt_struct_strippedPfi
	.p2align	8
	.type	_Z2mtPK18mt_struct_strippedPfi,@function
_Z2mtPK18mt_struct_strippedPfi:         ; @_Z2mtPK18mt_struct_strippedPfi
; %bb.0:
	s_load_b32 s2, s[0:1], 0x10
	s_wait_kmcnt 0x0
	s_cmp_lt_i32 s2, 1
	s_cbranch_scc1 .LBB1_3
; %bb.1:
	s_clause 0x1
	s_load_b32 s3, s[0:1], 0x24
	s_load_b128 s[4:7], s[0:1], 0x0
	s_wait_xcnt 0x0
	s_bfe_u32 s0, ttmp6, 0x4000c
	s_and_b32 s1, ttmp6, 15
	s_add_co_i32 s0, s0, 1
	s_getreg_b32 s8, hwreg(HW_REG_IB_STS2, 6, 4)
	s_mul_i32 s0, ttmp9, s0
	s_delay_alu instid0(SALU_CYCLE_1) | instskip(SKIP_4) | instid1(SALU_CYCLE_1)
	s_add_co_i32 s1, s1, s0
	s_wait_kmcnt 0x0
	s_and_b32 s3, s3, 0xffff
	s_cmp_eq_u32 s8, 0
	s_cselect_b32 s0, ttmp9, s1
	v_mad_u32 v36, s0, s3, v0
	s_mov_b32 s0, 0
	s_delay_alu instid0(VALU_DEP_1) | instskip(NEXT) | instid1(VALU_DEP_1)
	v_ashrrev_i32_e32 v37, 31, v36
	v_lshl_add_u64 v[0:1], v[36:37], 4, s[4:5]
	global_load_b128 v[32:35], v[0:1], off
	s_wait_loadcnt 0x0
	v_lshrrev_b32_e32 v0, 30, v35
	s_delay_alu instid0(VALU_DEP_1) | instskip(NEXT) | instid1(VALU_DEP_1)
	v_xor_b32_e32 v0, v0, v35
	v_mad_u32 v1, 0x6c078965, v0, 1
	s_delay_alu instid0(VALU_DEP_1) | instskip(NEXT) | instid1(VALU_DEP_1)
	v_lshrrev_b32_e32 v0, 30, v1
	v_xor_b32_e32 v0, v0, v1
	s_delay_alu instid0(VALU_DEP_1) | instskip(NEXT) | instid1(VALU_DEP_1)
	v_mad_u32 v2, 0x6c078965, v0, 2
	v_lshrrev_b32_e32 v0, 30, v2
	s_delay_alu instid0(VALU_DEP_1) | instskip(NEXT) | instid1(VALU_DEP_1)
	v_xor_b32_e32 v0, v0, v2
	v_mad_u32 v3, 0x6c078965, v0, 3
	s_delay_alu instid0(VALU_DEP_1) | instskip(NEXT) | instid1(VALU_DEP_1)
	v_lshrrev_b32_e32 v0, 30, v3
	v_xor_b32_e32 v0, v0, v3
	s_delay_alu instid0(VALU_DEP_1) | instskip(NEXT) | instid1(VALU_DEP_1)
	v_mad_u32 v4, 0x6c078965, v0, 4
	;; [unrolled: 9-line block ×8, first 2 shown]
	v_lshrrev_b32_e32 v0, 30, v16
	s_delay_alu instid0(VALU_DEP_1) | instskip(NEXT) | instid1(VALU_DEP_1)
	v_xor_b32_e32 v0, v0, v16
	v_mad_u32 v17, 0x6c078965, v0, 17
	s_delay_alu instid0(VALU_DEP_1) | instskip(NEXT) | instid1(VALU_DEP_1)
	v_lshrrev_b32_e32 v0, 30, v17
	v_xor_b32_e32 v0, v0, v17
	s_delay_alu instid0(VALU_DEP_1)
	v_mad_u32 v18, 0x6c078965, v0, 18
	v_mov_b32_e32 v0, v35
.LBB1_2:                                ; =>This Inner Loop Header: Depth=1
	s_cmp_gt_i32 s0, 17
	v_lshrrev_b32_e32 v19, 1, v35
	s_cselect_b32 s1, 0xffffffee, 1
	s_delay_alu instid0(SALU_CYCLE_1)
	s_add_co_i32 s1, s1, s0
	s_cmp_gt_i32 s0, 9
	s_mov_b32 m0, s1
	s_cselect_b32 s3, -10, 9
	v_movrels_b32_e32 v20, v0
	s_add_co_i32 s3, s3, s0
	s_add_co_i32 s2, s2, -1
	s_mov_b32 m0, s3
	s_cmp_lg_u32 s2, 0
	v_bfe_i32 v21, v20, 0, 1
	v_movrels_b32_e32 v22, v0
	s_mov_b32 m0, s0
	s_mov_b32 s0, s1
	s_delay_alu instid0(VALU_DEP_2) | instskip(NEXT) | instid1(VALU_DEP_1)
	v_dual_mov_b32 v35, v20 :: v_dual_bitop2_b32 v21, v21, v32 bitop3:0x40
	v_xor3_b32 v19, v22, v19, v21
	s_delay_alu instid0(VALU_DEP_1) | instskip(NEXT) | instid1(VALU_DEP_1)
	v_lshrrev_b32_e32 v21, 12, v19
	v_xor_b32_e32 v21, v21, v19
	s_delay_alu instid0(VALU_DEP_1) | instskip(NEXT) | instid1(VALU_DEP_1)
	v_lshlrev_b32_e32 v22, 7, v21
	v_and_b32_e32 v22, v22, v33
	s_delay_alu instid0(VALU_DEP_1) | instskip(NEXT) | instid1(VALU_DEP_1)
	v_xor_b32_e32 v21, v22, v21
	v_lshlrev_b32_e32 v22, 15, v21
	s_delay_alu instid0(VALU_DEP_1) | instskip(NEXT) | instid1(VALU_DEP_1)
	v_and_b32_e32 v22, v22, v34
	v_xor_b32_e32 v21, v22, v21
	s_delay_alu instid0(VALU_DEP_1) | instskip(NEXT) | instid1(VALU_DEP_1)
	v_lshrrev_b32_e32 v22, 18, v21
	v_xor_b32_e32 v21, v22, v21
	s_delay_alu instid0(VALU_DEP_1) | instskip(NEXT) | instid1(VALU_DEP_1)
	v_cvt_f32_u32_e32 v21, v21
	v_add_f32_e32 v21, 1.0, v21
	s_delay_alu instid0(VALU_DEP_1)
	v_mul_f32_e32 v37, 0x2f800000, v21
	v_movreld_b32_e32 v0, v19
	global_store_b32 v36, v37, s[6:7] scale_offset
	s_wait_xcnt 0x0
	v_add_nc_u32_e32 v36, 0x1000, v36
	s_cbranch_scc1 .LBB1_2
.LBB1_3:
	s_endpgm
	.section	.rodata,"a",@progbits
	.p2align	6, 0x0
	.amdhsa_kernel _Z2mtPK18mt_struct_strippedPfi
		.amdhsa_group_segment_fixed_size 0
		.amdhsa_private_segment_fixed_size 0
		.amdhsa_kernarg_size 280
		.amdhsa_user_sgpr_count 2
		.amdhsa_user_sgpr_dispatch_ptr 0
		.amdhsa_user_sgpr_queue_ptr 0
		.amdhsa_user_sgpr_kernarg_segment_ptr 1
		.amdhsa_user_sgpr_dispatch_id 0
		.amdhsa_user_sgpr_kernarg_preload_length 0
		.amdhsa_user_sgpr_kernarg_preload_offset 0
		.amdhsa_user_sgpr_private_segment_size 0
		.amdhsa_wavefront_size32 1
		.amdhsa_uses_dynamic_stack 0
		.amdhsa_enable_private_segment 0
		.amdhsa_system_sgpr_workgroup_id_x 1
		.amdhsa_system_sgpr_workgroup_id_y 0
		.amdhsa_system_sgpr_workgroup_id_z 0
		.amdhsa_system_sgpr_workgroup_info 0
		.amdhsa_system_vgpr_workitem_id 0
		.amdhsa_next_free_vgpr 38
		.amdhsa_next_free_sgpr 9
		.amdhsa_named_barrier_count 0
		.amdhsa_reserve_vcc 0
		.amdhsa_float_round_mode_32 0
		.amdhsa_float_round_mode_16_64 0
		.amdhsa_float_denorm_mode_32 3
		.amdhsa_float_denorm_mode_16_64 3
		.amdhsa_fp16_overflow 0
		.amdhsa_memory_ordered 1
		.amdhsa_forward_progress 1
		.amdhsa_inst_pref_size 7
		.amdhsa_round_robin_scheduling 0
		.amdhsa_exception_fp_ieee_invalid_op 0
		.amdhsa_exception_fp_denorm_src 0
		.amdhsa_exception_fp_ieee_div_zero 0
		.amdhsa_exception_fp_ieee_overflow 0
		.amdhsa_exception_fp_ieee_underflow 0
		.amdhsa_exception_fp_ieee_inexact 0
		.amdhsa_exception_int_div_zero 0
	.end_amdhsa_kernel
	.text
.Lfunc_end1:
	.size	_Z2mtPK18mt_struct_strippedPfi, .Lfunc_end1-_Z2mtPK18mt_struct_strippedPfi
                                        ; -- End function
	.set _Z2mtPK18mt_struct_strippedPfi.num_vgpr, 38
	.set _Z2mtPK18mt_struct_strippedPfi.num_agpr, 0
	.set _Z2mtPK18mt_struct_strippedPfi.numbered_sgpr, 9
	.set _Z2mtPK18mt_struct_strippedPfi.num_named_barrier, 0
	.set _Z2mtPK18mt_struct_strippedPfi.private_seg_size, 0
	.set _Z2mtPK18mt_struct_strippedPfi.uses_vcc, 0
	.set _Z2mtPK18mt_struct_strippedPfi.uses_flat_scratch, 0
	.set _Z2mtPK18mt_struct_strippedPfi.has_dyn_sized_stack, 0
	.set _Z2mtPK18mt_struct_strippedPfi.has_recursion, 0
	.set _Z2mtPK18mt_struct_strippedPfi.has_indirect_call, 0
	.section	.AMDGPU.csdata,"",@progbits
; Kernel info:
; codeLenInByte = 832
; TotalNumSgprs: 9
; NumVgprs: 38
; ScratchSize: 0
; MemoryBound: 0
; FloatMode: 240
; IeeeMode: 1
; LDSByteSize: 0 bytes/workgroup (compile time only)
; SGPRBlocks: 0
; VGPRBlocks: 2
; NumSGPRsForWavesPerEU: 9
; NumVGPRsForWavesPerEU: 38
; NamedBarCnt: 0
; Occupancy: 16
; WaveLimiterHint : 0
; COMPUTE_PGM_RSRC2:SCRATCH_EN: 0
; COMPUTE_PGM_RSRC2:USER_SGPR: 2
; COMPUTE_PGM_RSRC2:TRAP_HANDLER: 0
; COMPUTE_PGM_RSRC2:TGID_X_EN: 1
; COMPUTE_PGM_RSRC2:TGID_Y_EN: 0
; COMPUTE_PGM_RSRC2:TGID_Z_EN: 0
; COMPUTE_PGM_RSRC2:TIDIG_COMP_CNT: 0
	.text
	.p2alignl 7, 3214868480
	.fill 96, 4, 3214868480
	.section	.AMDGPU.gpr_maximums,"",@progbits
	.set amdgpu.max_num_vgpr, 0
	.set amdgpu.max_num_agpr, 0
	.set amdgpu.max_num_sgpr, 0
	.text
	.type	__hip_cuid_e0c756e4403109f0,@object ; @__hip_cuid_e0c756e4403109f0
	.section	.bss,"aw",@nobits
	.globl	__hip_cuid_e0c756e4403109f0
__hip_cuid_e0c756e4403109f0:
	.byte	0                               ; 0x0
	.size	__hip_cuid_e0c756e4403109f0, 1

	.ident	"AMD clang version 22.0.0git (https://github.com/RadeonOpenCompute/llvm-project roc-7.2.4 26084 f58b06dce1f9c15707c5f808fd002e18c2accf7e)"
	.section	".note.GNU-stack","",@progbits
	.addrsig
	.addrsig_sym __hip_cuid_e0c756e4403109f0
	.amdgpu_metadata
---
amdhsa.kernels:
  - .args:
      - .address_space:  global
        .offset:         0
        .size:           8
        .value_kind:     global_buffer
      - .offset:         8
        .size:           4
        .value_kind:     by_value
      - .offset:         16
        .size:           4
        .value_kind:     hidden_block_count_x
      - .offset:         20
        .size:           4
        .value_kind:     hidden_block_count_y
      - .offset:         24
        .size:           4
        .value_kind:     hidden_block_count_z
      - .offset:         28
        .size:           2
        .value_kind:     hidden_group_size_x
      - .offset:         30
        .size:           2
        .value_kind:     hidden_group_size_y
      - .offset:         32
        .size:           2
        .value_kind:     hidden_group_size_z
      - .offset:         34
        .size:           2
        .value_kind:     hidden_remainder_x
      - .offset:         36
        .size:           2
        .value_kind:     hidden_remainder_y
      - .offset:         38
        .size:           2
        .value_kind:     hidden_remainder_z
      - .offset:         56
        .size:           8
        .value_kind:     hidden_global_offset_x
      - .offset:         64
        .size:           8
        .value_kind:     hidden_global_offset_y
      - .offset:         72
        .size:           8
        .value_kind:     hidden_global_offset_z
      - .offset:         80
        .size:           2
        .value_kind:     hidden_grid_dims
    .group_segment_fixed_size: 0
    .kernarg_segment_align: 8
    .kernarg_segment_size: 272
    .language:       OpenCL C
    .language_version:
      - 2
      - 0
    .max_flat_workgroup_size: 1024
    .name:           _Z9boxmullerPfi
    .private_segment_fixed_size: 0
    .sgpr_count:     15
    .sgpr_spill_count: 0
    .symbol:         _Z9boxmullerPfi.kd
    .uniform_work_group_size: 1
    .uses_dynamic_stack: false
    .vgpr_count:     22
    .vgpr_spill_count: 0
    .wavefront_size: 32
  - .args:
      - .address_space:  global
        .offset:         0
        .size:           8
        .value_kind:     global_buffer
      - .address_space:  global
        .offset:         8
        .size:           8
        .value_kind:     global_buffer
      - .offset:         16
        .size:           4
        .value_kind:     by_value
      - .offset:         24
        .size:           4
        .value_kind:     hidden_block_count_x
      - .offset:         28
        .size:           4
        .value_kind:     hidden_block_count_y
      - .offset:         32
        .size:           4
        .value_kind:     hidden_block_count_z
      - .offset:         36
        .size:           2
        .value_kind:     hidden_group_size_x
      - .offset:         38
        .size:           2
        .value_kind:     hidden_group_size_y
      - .offset:         40
        .size:           2
        .value_kind:     hidden_group_size_z
      - .offset:         42
        .size:           2
        .value_kind:     hidden_remainder_x
      - .offset:         44
        .size:           2
        .value_kind:     hidden_remainder_y
      - .offset:         46
        .size:           2
        .value_kind:     hidden_remainder_z
      - .offset:         64
        .size:           8
        .value_kind:     hidden_global_offset_x
      - .offset:         72
        .size:           8
        .value_kind:     hidden_global_offset_y
      - .offset:         80
        .size:           8
        .value_kind:     hidden_global_offset_z
      - .offset:         88
        .size:           2
        .value_kind:     hidden_grid_dims
    .group_segment_fixed_size: 0
    .kernarg_segment_align: 8
    .kernarg_segment_size: 280
    .language:       OpenCL C
    .language_version:
      - 2
      - 0
    .max_flat_workgroup_size: 1024
    .name:           _Z2mtPK18mt_struct_strippedPfi
    .private_segment_fixed_size: 0
    .sgpr_count:     9
    .sgpr_spill_count: 0
    .symbol:         _Z2mtPK18mt_struct_strippedPfi.kd
    .uniform_work_group_size: 1
    .uses_dynamic_stack: false
    .vgpr_count:     38
    .vgpr_spill_count: 0
    .wavefront_size: 32
amdhsa.target:   amdgcn-amd-amdhsa--gfx1250
amdhsa.version:
  - 1
  - 2
...

	.end_amdgpu_metadata
